;; amdgpu-corpus repo=ROCm/rocFFT kind=compiled arch=gfx1030 opt=O3
	.text
	.amdgcn_target "amdgcn-amd-amdhsa--gfx1030"
	.amdhsa_code_object_version 6
	.protected	fft_rtc_back_len1144_factors_13_11_8_wgs_104_tpt_104_half_ip_CI_unitstride_sbrr_dirReg ; -- Begin function fft_rtc_back_len1144_factors_13_11_8_wgs_104_tpt_104_half_ip_CI_unitstride_sbrr_dirReg
	.globl	fft_rtc_back_len1144_factors_13_11_8_wgs_104_tpt_104_half_ip_CI_unitstride_sbrr_dirReg
	.p2align	8
	.type	fft_rtc_back_len1144_factors_13_11_8_wgs_104_tpt_104_half_ip_CI_unitstride_sbrr_dirReg,@function
fft_rtc_back_len1144_factors_13_11_8_wgs_104_tpt_104_half_ip_CI_unitstride_sbrr_dirReg: ; @fft_rtc_back_len1144_factors_13_11_8_wgs_104_tpt_104_half_ip_CI_unitstride_sbrr_dirReg
; %bb.0:
	s_clause 0x2
	s_load_dwordx4 s[8:11], s[4:5], 0x0
	s_load_dwordx2 s[2:3], s[4:5], 0x50
	s_load_dwordx2 s[12:13], s[4:5], 0x18
	v_mul_u32_u24_e32 v1, 0x277, v0
	v_mov_b32_e32 v3, 0
	v_add_nc_u32_sdwa v5, s6, v1 dst_sel:DWORD dst_unused:UNUSED_PAD src0_sel:DWORD src1_sel:WORD_1
	v_mov_b32_e32 v1, 0
	v_mov_b32_e32 v6, v3
	v_mov_b32_e32 v2, 0
	s_waitcnt lgkmcnt(0)
	v_cmp_lt_u64_e64 s0, s[10:11], 2
	s_and_b32 vcc_lo, exec_lo, s0
	s_cbranch_vccnz .LBB0_8
; %bb.1:
	s_load_dwordx2 s[0:1], s[4:5], 0x10
	v_mov_b32_e32 v1, 0
	s_add_u32 s6, s12, 8
	v_mov_b32_e32 v2, 0
	s_addc_u32 s7, s13, 0
	s_mov_b64 s[16:17], 1
	s_waitcnt lgkmcnt(0)
	s_add_u32 s14, s0, 8
	s_addc_u32 s15, s1, 0
.LBB0_2:                                ; =>This Inner Loop Header: Depth=1
	s_load_dwordx2 s[18:19], s[14:15], 0x0
                                        ; implicit-def: $vgpr7_vgpr8
	s_mov_b32 s0, exec_lo
	s_waitcnt lgkmcnt(0)
	v_or_b32_e32 v4, s19, v6
	v_cmpx_ne_u64_e32 0, v[3:4]
	s_xor_b32 s1, exec_lo, s0
	s_cbranch_execz .LBB0_4
; %bb.3:                                ;   in Loop: Header=BB0_2 Depth=1
	v_cvt_f32_u32_e32 v4, s18
	v_cvt_f32_u32_e32 v7, s19
	s_sub_u32 s0, 0, s18
	s_subb_u32 s20, 0, s19
	v_fmac_f32_e32 v4, 0x4f800000, v7
	v_rcp_f32_e32 v4, v4
	v_mul_f32_e32 v4, 0x5f7ffffc, v4
	v_mul_f32_e32 v7, 0x2f800000, v4
	v_trunc_f32_e32 v7, v7
	v_fmac_f32_e32 v4, 0xcf800000, v7
	v_cvt_u32_f32_e32 v7, v7
	v_cvt_u32_f32_e32 v4, v4
	v_mul_lo_u32 v8, s0, v7
	v_mul_hi_u32 v9, s0, v4
	v_mul_lo_u32 v10, s20, v4
	v_add_nc_u32_e32 v8, v9, v8
	v_mul_lo_u32 v9, s0, v4
	v_add_nc_u32_e32 v8, v8, v10
	v_mul_hi_u32 v10, v4, v9
	v_mul_lo_u32 v11, v4, v8
	v_mul_hi_u32 v12, v4, v8
	v_mul_hi_u32 v13, v7, v9
	v_mul_lo_u32 v9, v7, v9
	v_mul_hi_u32 v14, v7, v8
	v_mul_lo_u32 v8, v7, v8
	v_add_co_u32 v10, vcc_lo, v10, v11
	v_add_co_ci_u32_e32 v11, vcc_lo, 0, v12, vcc_lo
	v_add_co_u32 v9, vcc_lo, v10, v9
	v_add_co_ci_u32_e32 v9, vcc_lo, v11, v13, vcc_lo
	v_add_co_ci_u32_e32 v10, vcc_lo, 0, v14, vcc_lo
	v_add_co_u32 v8, vcc_lo, v9, v8
	v_add_co_ci_u32_e32 v9, vcc_lo, 0, v10, vcc_lo
	v_add_co_u32 v4, vcc_lo, v4, v8
	v_add_co_ci_u32_e32 v7, vcc_lo, v7, v9, vcc_lo
	v_mul_hi_u32 v8, s0, v4
	v_mul_lo_u32 v10, s20, v4
	v_mul_lo_u32 v9, s0, v7
	v_add_nc_u32_e32 v8, v8, v9
	v_mul_lo_u32 v9, s0, v4
	v_add_nc_u32_e32 v8, v8, v10
	v_mul_hi_u32 v10, v4, v9
	v_mul_lo_u32 v11, v4, v8
	v_mul_hi_u32 v12, v4, v8
	v_mul_hi_u32 v13, v7, v9
	v_mul_lo_u32 v9, v7, v9
	v_mul_hi_u32 v14, v7, v8
	v_mul_lo_u32 v8, v7, v8
	v_add_co_u32 v10, vcc_lo, v10, v11
	v_add_co_ci_u32_e32 v11, vcc_lo, 0, v12, vcc_lo
	v_add_co_u32 v9, vcc_lo, v10, v9
	v_add_co_ci_u32_e32 v9, vcc_lo, v11, v13, vcc_lo
	v_add_co_ci_u32_e32 v10, vcc_lo, 0, v14, vcc_lo
	v_add_co_u32 v8, vcc_lo, v9, v8
	v_add_co_ci_u32_e32 v9, vcc_lo, 0, v10, vcc_lo
	v_add_co_u32 v4, vcc_lo, v4, v8
	v_add_co_ci_u32_e32 v11, vcc_lo, v7, v9, vcc_lo
	v_mul_hi_u32 v13, v5, v4
	v_mad_u64_u32 v[9:10], null, v6, v4, 0
	v_mad_u64_u32 v[7:8], null, v5, v11, 0
	;; [unrolled: 1-line block ×3, first 2 shown]
	v_add_co_u32 v4, vcc_lo, v13, v7
	v_add_co_ci_u32_e32 v7, vcc_lo, 0, v8, vcc_lo
	v_add_co_u32 v4, vcc_lo, v4, v9
	v_add_co_ci_u32_e32 v4, vcc_lo, v7, v10, vcc_lo
	v_add_co_ci_u32_e32 v7, vcc_lo, 0, v12, vcc_lo
	v_add_co_u32 v4, vcc_lo, v4, v11
	v_add_co_ci_u32_e32 v9, vcc_lo, 0, v7, vcc_lo
	v_mul_lo_u32 v10, s19, v4
	v_mad_u64_u32 v[7:8], null, s18, v4, 0
	v_mul_lo_u32 v11, s18, v9
	v_sub_co_u32 v7, vcc_lo, v5, v7
	v_add3_u32 v8, v8, v11, v10
	v_sub_nc_u32_e32 v10, v6, v8
	v_subrev_co_ci_u32_e64 v10, s0, s19, v10, vcc_lo
	v_add_co_u32 v11, s0, v4, 2
	v_add_co_ci_u32_e64 v12, s0, 0, v9, s0
	v_sub_co_u32 v13, s0, v7, s18
	v_sub_co_ci_u32_e32 v8, vcc_lo, v6, v8, vcc_lo
	v_subrev_co_ci_u32_e64 v10, s0, 0, v10, s0
	v_cmp_le_u32_e32 vcc_lo, s18, v13
	v_cmp_eq_u32_e64 s0, s19, v8
	v_cndmask_b32_e64 v13, 0, -1, vcc_lo
	v_cmp_le_u32_e32 vcc_lo, s19, v10
	v_cndmask_b32_e64 v14, 0, -1, vcc_lo
	v_cmp_le_u32_e32 vcc_lo, s18, v7
	;; [unrolled: 2-line block ×3, first 2 shown]
	v_cndmask_b32_e64 v15, 0, -1, vcc_lo
	v_cmp_eq_u32_e32 vcc_lo, s19, v10
	v_cndmask_b32_e64 v7, v15, v7, s0
	v_cndmask_b32_e32 v10, v14, v13, vcc_lo
	v_add_co_u32 v13, vcc_lo, v4, 1
	v_add_co_ci_u32_e32 v14, vcc_lo, 0, v9, vcc_lo
	v_cmp_ne_u32_e32 vcc_lo, 0, v10
	v_cndmask_b32_e32 v8, v14, v12, vcc_lo
	v_cndmask_b32_e32 v10, v13, v11, vcc_lo
	v_cmp_ne_u32_e32 vcc_lo, 0, v7
	v_cndmask_b32_e32 v8, v9, v8, vcc_lo
	v_cndmask_b32_e32 v7, v4, v10, vcc_lo
.LBB0_4:                                ;   in Loop: Header=BB0_2 Depth=1
	s_andn2_saveexec_b32 s0, s1
	s_cbranch_execz .LBB0_6
; %bb.5:                                ;   in Loop: Header=BB0_2 Depth=1
	v_cvt_f32_u32_e32 v4, s18
	s_sub_i32 s1, 0, s18
	v_rcp_iflag_f32_e32 v4, v4
	v_mul_f32_e32 v4, 0x4f7ffffe, v4
	v_cvt_u32_f32_e32 v4, v4
	v_mul_lo_u32 v7, s1, v4
	v_mul_hi_u32 v7, v4, v7
	v_add_nc_u32_e32 v4, v4, v7
	v_mul_hi_u32 v4, v5, v4
	v_mul_lo_u32 v7, v4, s18
	v_add_nc_u32_e32 v8, 1, v4
	v_sub_nc_u32_e32 v7, v5, v7
	v_subrev_nc_u32_e32 v9, s18, v7
	v_cmp_le_u32_e32 vcc_lo, s18, v7
	v_cndmask_b32_e32 v7, v7, v9, vcc_lo
	v_cndmask_b32_e32 v4, v4, v8, vcc_lo
	v_cmp_le_u32_e32 vcc_lo, s18, v7
	v_add_nc_u32_e32 v8, 1, v4
	v_cndmask_b32_e32 v7, v4, v8, vcc_lo
	v_mov_b32_e32 v8, v3
.LBB0_6:                                ;   in Loop: Header=BB0_2 Depth=1
	s_or_b32 exec_lo, exec_lo, s0
	s_load_dwordx2 s[0:1], s[6:7], 0x0
	v_mul_lo_u32 v4, v8, s18
	v_mul_lo_u32 v11, v7, s19
	v_mad_u64_u32 v[9:10], null, v7, s18, 0
	s_add_u32 s16, s16, 1
	s_addc_u32 s17, s17, 0
	s_add_u32 s6, s6, 8
	s_addc_u32 s7, s7, 0
	;; [unrolled: 2-line block ×3, first 2 shown]
	v_add3_u32 v4, v10, v11, v4
	v_sub_co_u32 v5, vcc_lo, v5, v9
	v_sub_co_ci_u32_e32 v4, vcc_lo, v6, v4, vcc_lo
	s_waitcnt lgkmcnt(0)
	v_mul_lo_u32 v6, s1, v5
	v_mul_lo_u32 v4, s0, v4
	v_mad_u64_u32 v[1:2], null, s0, v5, v[1:2]
	v_cmp_ge_u64_e64 s0, s[16:17], s[10:11]
	s_and_b32 vcc_lo, exec_lo, s0
	v_add3_u32 v2, v6, v2, v4
	s_cbranch_vccnz .LBB0_9
; %bb.7:                                ;   in Loop: Header=BB0_2 Depth=1
	v_mov_b32_e32 v5, v7
	v_mov_b32_e32 v6, v8
	s_branch .LBB0_2
.LBB0_8:
	v_mov_b32_e32 v8, v6
	v_mov_b32_e32 v7, v5
.LBB0_9:
	s_lshl_b64 s[0:1], s[10:11], 3
	v_mul_hi_u32 v5, 0x2762763, v0
	s_add_u32 s0, s12, s0
	s_addc_u32 s1, s13, s1
	s_load_dwordx2 s[0:1], s[0:1], 0x0
	s_load_dwordx2 s[4:5], s[4:5], 0x20
	s_waitcnt lgkmcnt(0)
	v_mul_lo_u32 v6, s0, v8
	v_mul_lo_u32 v9, s1, v7
	v_mad_u64_u32 v[3:4], null, s0, v7, v[1:2]
	v_mul_u32_u24_e32 v1, 0x68, v5
	v_cmp_gt_u64_e32 vcc_lo, s[4:5], v[7:8]
	v_sub_nc_u32_e32 v2, v0, v1
	v_add3_u32 v4, v9, v4, v6
	v_lshl_add_u32 v19, v2, 2, 0
	v_lshlrev_b64 v[0:1], 2, v[3:4]
	s_and_saveexec_b32 s1, vcc_lo
	s_cbranch_execz .LBB0_11
; %bb.10:
	v_mov_b32_e32 v3, 0
	v_add_co_u32 v5, s0, s2, v0
	v_add_co_ci_u32_e64 v6, s0, s3, v1, s0
	v_lshlrev_b64 v[3:4], 2, v[2:3]
	v_add_nc_u32_e32 v16, 0x800, v19
	v_add_nc_u32_e32 v17, 0xc00, v19
	v_add_co_u32 v3, s0, v5, v3
	v_add_co_ci_u32_e64 v4, s0, v6, v4, s0
	v_add_co_u32 v5, s0, 0x800, v3
	v_add_co_ci_u32_e64 v6, s0, 0, v4, s0
	;; [unrolled: 2-line block ×3, first 2 shown]
	s_clause 0xa
	global_load_dword v9, v[3:4], off
	global_load_dword v10, v[3:4], off offset:416
	global_load_dword v11, v[3:4], off offset:832
	;; [unrolled: 1-line block ×10, first 2 shown]
	v_add_nc_u32_e32 v7, 0x200, v19
	v_add_nc_u32_e32 v8, 0x600, v19
	s_waitcnt vmcnt(9)
	ds_write2_b32 v19, v9, v10 offset1:104
	s_waitcnt vmcnt(7)
	ds_write2_b32 v7, v11, v12 offset0:80 offset1:184
	s_waitcnt vmcnt(5)
	ds_write2_b32 v8, v3, v4 offset0:32 offset1:136
	;; [unrolled: 2-line block ×4, first 2 shown]
	s_waitcnt vmcnt(0)
	ds_write_b32 v19, v6 offset:4160
.LBB0_11:
	s_or_b32 exec_lo, exec_lo, s1
	v_add_nc_u32_e32 v3, 0x200, v19
	v_add_nc_u32_e32 v22, 0xc00, v19
	v_add_nc_u32_e32 v18, 0x400, v19
	v_add_nc_u32_e32 v4, 0xa00, v19
	s_waitcnt lgkmcnt(0)
	s_barrier
	buffer_gl0_inv
	ds_read_b32 v31, v19 offset:4224
	ds_read2_b32 v[6:7], v19 offset1:88
	ds_read2_b32 v[16:17], v3 offset0:48 offset1:136
	ds_read2_b32 v[8:9], v22 offset0:112 offset1:200
	;; [unrolled: 1-line block ×4, first 2 shown]
	v_add_nc_u32_e32 v23, 0x800, v19
	s_mov_b32 s1, exec_lo
	ds_read2_b32 v[12:13], v23 offset0:16 offset1:104
	s_waitcnt lgkmcnt(0)
	s_barrier
	buffer_gl0_inv
	v_pk_add_f16 v28, v7, v31 neg_lo:[0,1] neg_hi:[0,1]
	v_pk_add_f16 v27, v16, v9 neg_lo:[0,1] neg_hi:[0,1]
	v_pk_add_f16 v35, v9, v16
	v_pk_add_f16 v24, v15, v10 neg_lo:[0,1] neg_hi:[0,1]
	v_pk_add_f16 v32, v10, v15
	v_pk_add_f16 v36, v31, v7
	v_pk_mul_f16 v5, 0xba95, v27 op_sel_hi:[0,1]
	v_pk_mul_f16 v4, 0xb770, v28 op_sel_hi:[0,1]
	v_pk_add_f16 v30, v12, v13 neg_lo:[0,1] neg_hi:[0,1]
	v_pk_add_f16 v26, v17, v8 neg_lo:[0,1] neg_hi:[0,1]
	;; [unrolled: 1-line block ×3, first 2 shown]
	v_pk_fma_f16 v42, 0x388b, v35, v5 op_sel:[0,0,1] op_sel_hi:[0,1,0] neg_lo:[0,0,1] neg_hi:[0,0,1]
	v_pk_fma_f16 v44, 0x388b, v35, v5 op_sel:[0,0,1] op_sel_hi:[0,1,0]
	v_pk_mul_f16 v5, 0xb94e, v24 op_sel_hi:[0,1]
	v_pk_add_f16 v33, v13, v12
	v_pk_mul_f16 v21, 0xb3a8, v30 op_sel_hi:[0,1]
	v_pk_add_f16 v34, v8, v17
	v_pk_add_f16 v29, v11, v14
	v_pk_fma_f16 v45, 0xb9fd, v32, v5 op_sel:[0,0,1] op_sel_hi:[0,1,0] neg_lo:[0,0,1] neg_hi:[0,0,1]
	v_pk_fma_f16 v46, 0xb9fd, v32, v5 op_sel:[0,0,1] op_sel_hi:[0,1,0]
	v_pk_mul_f16 v5, 0xba95, v28 op_sel_hi:[0,1]
	v_pk_fma_f16 v41, 0x3b15, v36, v4 op_sel:[0,0,1] op_sel_hi:[0,1,0] neg_lo:[0,0,1] neg_hi:[0,0,1]
	v_pk_mul_f16 v20, 0xbbf1, v26 op_sel_hi:[0,1]
	v_pk_fma_f16 v43, 0x3b15, v36, v4 op_sel:[0,0,1] op_sel_hi:[0,1,0]
	v_pk_mul_f16 v4, 0xbb7b, v25 op_sel_hi:[0,1]
	v_pk_fma_f16 v47, 0xbbc4, v33, v21 op_sel:[0,0,1] op_sel_hi:[0,1,0] neg_lo:[0,0,1] neg_hi:[0,0,1]
	v_pk_fma_f16 v48, 0xbbc4, v33, v21 op_sel:[0,0,1] op_sel_hi:[0,1,0]
	v_pk_mul_f16 v21, 0xbb7b, v27 op_sel_hi:[0,1]
	v_pk_fma_f16 v49, 0x388b, v36, v5 op_sel:[0,0,1] op_sel_hi:[0,1,0]
	v_pk_fma_f16 v50, 0x388b, v36, v5 op_sel:[0,0,1] op_sel_hi:[0,1,0] neg_lo:[0,0,1] neg_hi:[0,0,1]
	v_pk_fma_f16 v37, 0x2fb7, v34, v20 op_sel:[0,0,1] op_sel_hi:[0,1,0] neg_lo:[0,0,1] neg_hi:[0,0,1]
	v_pk_fma_f16 v38, 0x2fb7, v34, v20 op_sel:[0,0,1] op_sel_hi:[0,1,0]
	v_pk_fma_f16 v39, 0xb5ac, v29, v4 op_sel:[0,0,1] op_sel_hi:[0,1,0] neg_lo:[0,0,1] neg_hi:[0,0,1]
	v_pk_fma_f16 v40, 0xb5ac, v29, v4 op_sel:[0,0,1] op_sel_hi:[0,1,0]
	v_add_f16_e32 v4, v6, v41
	v_add_f16_sdwa v20, v6, v43 dst_sel:DWORD dst_unused:UNUSED_PAD src0_sel:WORD_1 src1_sel:WORD_1
	v_pk_mul_f16 v54, 0xb3a8, v26 op_sel_hi:[0,1]
	v_pk_fma_f16 v51, 0xb5ac, v35, v21 op_sel:[0,0,1] op_sel_hi:[0,1,0]
	v_add_f16_sdwa v5, v6, v49 dst_sel:DWORD dst_unused:UNUSED_PAD src0_sel:WORD_1 src1_sel:WORD_1
	v_pk_fma_f16 v52, 0xb5ac, v35, v21 op_sel:[0,0,1] op_sel_hi:[0,1,0] neg_lo:[0,0,1] neg_hi:[0,0,1]
	v_add_f16_e32 v21, v6, v50
	v_add_f16_e32 v4, v42, v4
	v_add_f16_sdwa v20, v44, v20 dst_sel:DWORD dst_unused:UNUSED_PAD src0_sel:WORD_1 src1_sel:DWORD
	v_pk_fma_f16 v53, 0xbbc4, v34, v54 op_sel:[0,0,1] op_sel_hi:[0,1,0]
	v_pk_mul_f16 v56, 0x394e, v25 op_sel_hi:[0,1]
	v_add_f16_sdwa v5, v51, v5 dst_sel:DWORD dst_unused:UNUSED_PAD src0_sel:WORD_1 src1_sel:DWORD
	v_pk_fma_f16 v54, 0xbbc4, v34, v54 op_sel:[0,0,1] op_sel_hi:[0,1,0] neg_lo:[0,0,1] neg_hi:[0,0,1]
	v_add_f16_e32 v21, v52, v21
	v_add_f16_e32 v4, v37, v4
	v_add_f16_sdwa v20, v38, v20 dst_sel:DWORD dst_unused:UNUSED_PAD src0_sel:WORD_1 src1_sel:DWORD
	v_pk_mul_f16 v58, 0x3bf1, v24 op_sel_hi:[0,1]
	v_pk_fma_f16 v55, 0xb9fd, v29, v56 op_sel:[0,0,1] op_sel_hi:[0,1,0]
	v_add_f16_sdwa v5, v53, v5 dst_sel:DWORD dst_unused:UNUSED_PAD src0_sel:WORD_1 src1_sel:DWORD
	v_pk_fma_f16 v57, 0xb9fd, v29, v56 op_sel:[0,0,1] op_sel_hi:[0,1,0] neg_lo:[0,0,1] neg_hi:[0,0,1]
	v_add_f16_e32 v21, v54, v21
	v_add_f16_e32 v4, v39, v4
	v_add_f16_sdwa v20, v40, v20 dst_sel:DWORD dst_unused:UNUSED_PAD src0_sel:WORD_1 src1_sel:DWORD
	v_pk_fma_f16 v56, 0x2fb7, v32, v58 op_sel:[0,0,1] op_sel_hi:[0,1,0]
	v_pk_mul_f16 v60, 0x3770, v30 op_sel_hi:[0,1]
	v_add_f16_sdwa v5, v55, v5 dst_sel:DWORD dst_unused:UNUSED_PAD src0_sel:WORD_1 src1_sel:DWORD
	v_pk_fma_f16 v58, 0x2fb7, v32, v58 op_sel:[0,0,1] op_sel_hi:[0,1,0] neg_lo:[0,0,1] neg_hi:[0,0,1]
	v_add_f16_e32 v21, v57, v21
	v_add_f16_sdwa v20, v46, v20 dst_sel:DWORD dst_unused:UNUSED_PAD src0_sel:WORD_1 src1_sel:DWORD
	v_pk_fma_f16 v59, 0x3b15, v33, v60 op_sel:[0,0,1] op_sel_hi:[0,1,0]
	v_add_f16_sdwa v5, v56, v5 dst_sel:DWORD dst_unused:UNUSED_PAD src0_sel:WORD_1 src1_sel:DWORD
	v_add_f16_e32 v4, v45, v4
	v_pk_fma_f16 v60, 0x3b15, v33, v60 op_sel:[0,0,1] op_sel_hi:[0,1,0] neg_lo:[0,0,1] neg_hi:[0,0,1]
	v_add_f16_e32 v61, v58, v21
	v_add_f16_sdwa v20, v48, v20 dst_sel:DWORD dst_unused:UNUSED_PAD src0_sel:WORD_1 src1_sel:DWORD
	v_add_f16_sdwa v21, v59, v5 dst_sel:DWORD dst_unused:UNUSED_PAD src0_sel:WORD_1 src1_sel:DWORD
	v_add_f16_e32 v5, v47, v4
	v_add_f16_e32 v4, v60, v61
	v_cmpx_gt_u32_e32 0x58, v2
	s_cbranch_execz .LBB0_13
; %bb.12:
	v_pk_add_f16 v7, v6, v7
	v_mul_f16_e32 v61, 0xbbf1, v28
	v_lshrrev_b32_e32 v62, 16, v36
	v_mul_f16_e32 v63, 0xb3a8, v27
	v_lshrrev_b32_e32 v64, 16, v35
	v_pk_add_f16 v7, v7, v16
	v_mul_f16_e32 v16, 0x3b7b, v26
	v_fmamk_f16 v67, v62, 0x2fb7, v61
	v_lshrrev_b32_e32 v65, 16, v34
	v_fmamk_f16 v69, v64, 0xbbc4, v63
	v_pk_add_f16 v7, v7, v17
	v_mov_b32_e32 v70, 0xbbf1
	v_add_f16_sdwa v67, v6, v67 dst_sel:DWORD dst_unused:UNUSED_PAD src0_sel:WORD_1 src1_sel:DWORD
	v_mul_f16_e32 v66, 0x3770, v25
	v_lshrrev_b32_e32 v17, 16, v29
	v_pk_add_f16 v7, v7, v14
	v_fmamk_f16 v71, v65, 0xb5ac, v16
	v_add_f16_e32 v67, v69, v67
	v_mul_f16_sdwa v69, v28, v70 dst_sel:DWORD dst_unused:UNUSED_PAD src0_sel:WORD_1 src1_sel:DWORD
	v_mul_f16_e32 v68, 0xba95, v24
	v_pk_add_f16 v7, v7, v15
	v_mov_b32_e32 v15, 0xb3a8
	v_lshrrev_b32_e32 v14, 16, v32
	v_fmamk_f16 v72, v17, 0x3b15, v66
	v_add_f16_e32 v67, v71, v67
	v_pk_add_f16 v7, v7, v12
	v_mov_b32_e32 v12, 0x3b7b
	v_fma_f16 v71, v36, 0x2fb7, -v69
	v_mul_f16_sdwa v15, v27, v15 dst_sel:DWORD dst_unused:UNUSED_PAD src0_sel:WORD_1 src1_sel:DWORD
	v_add_f16_e32 v67, v72, v67
	v_pk_add_f16 v7, v7, v13
	v_fmamk_f16 v13, v14, 0x388b, v68
	v_add_f16_e32 v71, v6, v71
	v_fma_f16 v72, v35, 0xbbc4, -v15
	v_mul_f16_sdwa v12, v26, v12 dst_sel:DWORD dst_unused:UNUSED_PAD src0_sel:WORD_1 src1_sel:DWORD
	v_mov_b32_e32 v73, 0x3770
	v_add_f16_e32 v13, v13, v67
	v_mul_f16_e32 v67, 0xb94e, v30
	v_add_f16_e32 v71, v72, v71
	v_fma_f16 v72, v34, 0xb5ac, -v12
	v_mul_f16_sdwa v74, v25, v73 dst_sel:DWORD dst_unused:UNUSED_PAD src0_sel:WORD_1 src1_sel:DWORD
	v_mov_b32_e32 v75, 0xba95
	v_lshrrev_b32_e32 v76, 16, v33
	v_mul_f16_e32 v77, 0xbb7b, v28
	v_add_f16_e32 v71, v72, v71
	v_fma_f16 v72, v29, 0x3b15, -v74
	v_mul_f16_sdwa v78, v24, v75 dst_sel:DWORD dst_unused:UNUSED_PAD src0_sel:WORD_1 src1_sel:DWORD
	v_fmamk_f16 v79, v76, 0xb9fd, v67
	v_fmamk_f16 v80, v62, 0xb5ac, v77
	v_mul_f16_e32 v81, 0x394e, v27
	v_add_f16_e32 v71, v72, v71
	v_fma_f16 v72, v32, 0x388b, -v78
	v_add_f16_e32 v13, v79, v13
	v_add_f16_sdwa v79, v6, v80 dst_sel:DWORD dst_unused:UNUSED_PAD src0_sel:WORD_1 src1_sel:DWORD
	v_fmamk_f16 v80, v64, 0xb9fd, v81
	v_mov_b32_e32 v82, 0xbb7b
	v_add_f16_e32 v71, v72, v71
	v_mul_f16_e32 v72, 0x3770, v26
	v_mov_b32_e32 v84, 0x394e
	v_add_f16_e32 v79, v80, v79
	v_mul_f16_sdwa v80, v28, v82 dst_sel:DWORD dst_unused:UNUSED_PAD src0_sel:WORD_1 src1_sel:DWORD
	v_mul_f16_e32 v86, 0xbbf1, v25
	v_fmamk_f16 v85, v65, 0x3b15, v72
	v_mul_f16_sdwa v84, v27, v84 dst_sel:DWORD dst_unused:UNUSED_PAD src0_sel:WORD_1 src1_sel:DWORD
	v_mov_b32_e32 v83, 0xb94e
	v_fma_f16 v88, v36, 0xb5ac, -v80
	v_mul_f16_e32 v89, 0x33a8, v24
	v_add_f16_e32 v79, v85, v79
	v_fmamk_f16 v85, v17, 0x2fb7, v86
	v_fma_f16 v90, v35, 0xb9fd, -v84
	v_add_f16_e32 v88, v6, v88
	v_mul_f16_sdwa v91, v26, v73 dst_sel:DWORD dst_unused:UNUSED_PAD src0_sel:WORD_1 src1_sel:DWORD
	v_mul_f16_sdwa v87, v30, v83 dst_sel:DWORD dst_unused:UNUSED_PAD src0_sel:WORD_1 src1_sel:DWORD
	v_add_f16_e32 v79, v85, v79
	v_fmamk_f16 v85, v14, 0xbbc4, v89
	v_add_f16_e32 v88, v90, v88
	v_fma_f16 v90, v34, 0x3b15, -v91
	v_mul_f16_sdwa v70, v25, v70 dst_sel:DWORD dst_unused:UNUSED_PAD src0_sel:WORD_1 src1_sel:DWORD
	v_mov_b32_e32 v93, 0x33a8
	v_fma_f16 v92, v33, 0xb9fd, -v87
	v_mul_f16_e32 v94, 0x3a95, v30
	v_add_f16_e32 v79, v85, v79
	v_add_f16_e32 v85, v90, v88
	v_fma_f16 v88, v29, 0x2fb7, -v70
	v_mul_f16_sdwa v90, v24, v93 dst_sel:DWORD dst_unused:UNUSED_PAD src0_sel:WORD_1 src1_sel:DWORD
	v_mov_b32_e32 v96, 0x3a95
	v_fmamk_f16 v95, v76, 0x388b, v94
	v_add_f16_e32 v71, v92, v71
	v_add_f16_e32 v85, v88, v85
	v_fma_f16 v88, v32, 0xbbc4, -v90
	v_mul_f16_sdwa v92, v30, v96 dst_sel:DWORD dst_unused:UNUSED_PAD src0_sel:WORD_1 src1_sel:DWORD
	v_add_f16_e32 v79, v95, v79
	v_mul_f16_sdwa v83, v28, v83 dst_sel:DWORD dst_unused:UNUSED_PAD src0_sel:WORD_1 src1_sel:DWORD
	v_mov_b32_e32 v98, 0x3bf1
	v_add_f16_e32 v85, v88, v85
	v_fma_f16 v95, v33, 0x388b, -v92
	v_mul_f16_e32 v97, 0xb94e, v28
	v_mul_f16_e32 v88, 0x3bf1, v27
	v_mul_f16_sdwa v98, v27, v98 dst_sel:DWORD dst_unused:UNUSED_PAD src0_sel:WORD_1 src1_sel:DWORD
	v_mul_f16_sdwa v75, v26, v75 dst_sel:DWORD dst_unused:UNUSED_PAD src0_sel:WORD_1 src1_sel:DWORD
	v_add_f16_e32 v85, v95, v85
	v_fma_f16 v95, v36, 0xb9fd, -v83
	v_fmac_f16_e32 v83, 0xb9fd, v36
	v_fmamk_f16 v96, v62, 0xb9fd, v97
	v_fma_f16 v102, v35, 0x2fb7, -v98
	v_fma_f16 v97, v62, 0xb9fd, -v97
	v_add_f16_e32 v95, v6, v95
	v_add_f16_e32 v83, v6, v83
	v_fmac_f16_e32 v98, 0x2fb7, v35
	v_fma_f16 v77, v62, 0xb5ac, -v77
	v_fma_f16 v61, v62, 0x2fb7, -v61
	v_add_f16_sdwa v96, v6, v96 dst_sel:DWORD dst_unused:UNUSED_PAD src0_sel:WORD_1 src1_sel:DWORD
	v_fmamk_f16 v99, v64, 0x2fb7, v88
	v_mul_f16_e32 v100, 0xba95, v26
	v_add_f16_e32 v95, v102, v95
	v_fma_f16 v102, v34, 0x388b, -v75
	v_mul_f16_sdwa v93, v25, v93 dst_sel:DWORD dst_unused:UNUSED_PAD src0_sel:WORD_1 src1_sel:DWORD
	v_add_f16_sdwa v97, v6, v97 dst_sel:DWORD dst_unused:UNUSED_PAD src0_sel:WORD_1 src1_sel:DWORD
	v_fma_f16 v88, v64, 0x2fb7, -v88
	v_add_f16_e32 v83, v98, v83
	v_fmac_f16_e32 v75, 0x388b, v34
	v_add_f16_sdwa v77, v6, v77 dst_sel:DWORD dst_unused:UNUSED_PAD src0_sel:WORD_1 src1_sel:DWORD
	v_fma_f16 v81, v64, 0xb9fd, -v81
	v_fmac_f16_e32 v69, 0x2fb7, v36
	v_fma_f16 v63, v64, 0xbbc4, -v63
	v_add_f16_sdwa v61, v6, v61 dst_sel:DWORD dst_unused:UNUSED_PAD src0_sel:WORD_1 src1_sel:DWORD
	v_add_f16_e32 v96, v99, v96
	v_fmamk_f16 v99, v65, 0x388b, v100
	v_mul_f16_e32 v101, 0x33a8, v25
	v_add_f16_e32 v95, v102, v95
	v_fma_f16 v102, v29, 0xbbc4, -v93
	v_mul_f16_sdwa v73, v24, v73 dst_sel:DWORD dst_unused:UNUSED_PAD src0_sel:WORD_1 src1_sel:DWORD
	v_add_f16_e32 v88, v88, v97
	v_fma_f16 v97, v65, 0x388b, -v100
	v_add_f16_e32 v75, v75, v83
	v_fmac_f16_e32 v93, 0xbbc4, v29
	v_add_f16_e32 v77, v81, v77
	v_fma_f16 v72, v65, 0x3b15, -v72
	v_add_f16_e32 v64, v6, v69
	v_fmac_f16_e32 v15, 0xbbc4, v35
	v_add_f16_e32 v61, v63, v61
	v_fma_f16 v16, v65, 0xb5ac, -v16
	v_add_f16_e32 v96, v99, v96
	v_fmamk_f16 v99, v17, 0xbbc4, v101
	v_mul_f16_e32 v103, 0x3770, v24
	v_add_f16_e32 v95, v102, v95
	v_fma_f16 v102, v32, 0x3b15, -v73
	v_add_f16_e32 v88, v97, v88
	v_fma_f16 v97, v17, 0xbbc4, -v101
	v_add_f16_e32 v75, v93, v75
	v_fmac_f16_e32 v73, 0x3b15, v32
	v_add_f16_e32 v72, v72, v77
	v_fma_f16 v77, v17, 0x2fb7, -v86
	v_add_f16_e32 v15, v15, v64
	v_fmac_f16_e32 v12, 0xb5ac, v34
	v_add_f16_e32 v16, v16, v61
	v_fma_f16 v17, v17, 0x3b15, -v66
	v_add_f16_e32 v96, v99, v96
	v_fmamk_f16 v99, v14, 0x3b15, v103
	v_add_f16_e32 v88, v97, v88
	v_fma_f16 v97, v14, 0x3b15, -v103
	v_add_f16_e32 v73, v73, v75
	v_fma_f16 v75, v14, 0xbbc4, -v89
	v_add_f16_e32 v12, v12, v15
	v_add_f16_e32 v15, v17, v16
	v_fma_f16 v14, v14, 0x388b, -v68
	v_bfi_b32 v41, 0xffff, v43, v41
	v_bfi_b32 v42, 0xffff, v44, v42
	v_pk_add_f16 v7, v7, v10
	v_bfi_b32 v37, 0xffff, v38, v37
	v_add_f16_e32 v14, v14, v15
	v_fma_f16 v15, v76, 0xb9fd, -v67
	v_pk_add_f16 v10, v6, v41
	v_pk_add_f16 v7, v7, v11
	v_bfi_b32 v38, 0xffff, v40, v39
	v_fmac_f16_e32 v84, 0xb9fd, v35
	v_add_f16_e32 v14, v15, v14
	v_bfi_b32 v15, 0xffff, v49, v50
	v_bfi_b32 v49, 0xffff, v51, v52
	;; [unrolled: 1-line block ×3, first 2 shown]
	v_pk_add_f16 v10, v42, v10
	v_bfi_b32 v51, 0xffff, v55, v57
	v_pk_add_f16 v15, v6, v15
	v_pk_add_f16 v7, v7, v8
	v_pk_mul_f16 v35, 0x3b15, v35 op_sel_hi:[0,1]
	v_pk_add_f16 v8, v37, v10
	v_alignbit_b32 v37, s0, v6, 16
	v_pk_add_f16 v11, v49, v15
	v_bfi_b32 v15, 0xffff, v46, v45
	v_pk_add_f16 v7, v7, v9
	v_pk_add_f16 v8, v38, v8
	v_fmac_f16_e32 v80, 0xb5ac, v36
	v_pk_add_f16 v10, v50, v11
	v_pk_mul_f16 v11, 0xbbc4, v36 op_sel_hi:[0,1]
	v_fmac_f16_e32 v91, 0x3b15, v34
	v_pk_add_f16 v8, v15, v8
	v_pk_add_f16 v7, v7, v31
	;; [unrolled: 1-line block ×3, first 2 shown]
	v_pk_fma_f16 v10, 0xb3a8, v28, v11 op_sel:[0,0,1] op_sel_hi:[0,1,0]
	v_pk_fma_f16 v31, 0x3770, v27, v35 op_sel:[0,0,1] op_sel_hi:[0,1,0]
	v_pk_mul_f16 v34, 0xb9fd, v34 op_sel_hi:[0,1]
	v_pk_fma_f16 v11, 0xb3a8, v28, v11 op_sel:[0,0,1] op_sel_hi:[0,1,0] neg_lo:[0,1,0] neg_hi:[0,1,0]
	v_add_f16_e32 v62, v6, v80
	v_pk_add_f16 v15, v37, v10
	v_alignbit_b32 v10, s0, v10, 16
	v_fmac_f16_e32 v70, 0x2fb7, v29
	v_fmac_f16_e32 v74, 0x3b15, v29
	v_pk_fma_f16 v28, 0xb94e, v26, v34 op_sel:[0,0,1] op_sel_hi:[0,1,0]
	v_pk_mul_f16 v29, 0x388b, v29 op_sel_hi:[0,1]
	v_pk_add_f16 v11, v6, v11 op_sel:[1,0] op_sel_hi:[0,1]
	v_pk_fma_f16 v27, 0x3770, v27, v35 op_sel:[0,0,1] op_sel_hi:[0,1,0] neg_lo:[0,1,0] neg_hi:[0,1,0]
	v_pk_add_f16 v6, v6, v10
	v_alignbit_b32 v10, s0, v31, 16
	v_add_f16_e32 v62, v84, v62
	v_pk_add_f16 v15, v31, v15
	v_pk_fma_f16 v31, 0x3a95, v25, v29 op_sel:[0,0,1] op_sel_hi:[0,1,0]
	v_pk_add_f16 v11, v27, v11
	v_pk_fma_f16 v26, 0xb94e, v26, v34 op_sel:[0,0,1] op_sel_hi:[0,1,0] neg_lo:[0,1,0] neg_hi:[0,1,0]
	v_pk_add_f16 v6, v10, v6
	v_alignbit_b32 v10, s0, v28, 16
	v_pk_mul_f16 v27, 0xb5ac, v32 op_sel_hi:[0,1]
	v_mul_f16_e32 v104, 0xbb7b, v30
	v_add_f16_e32 v62, v91, v62
	v_add_f16_e32 v12, v74, v12
	v_fmac_f16_e32 v78, 0x388b, v32
	v_pk_add_f16 v15, v28, v15
	v_pk_add_f16 v11, v26, v11
	v_pk_fma_f16 v25, 0x3a95, v25, v29 op_sel:[0,0,1] op_sel_hi:[0,1,0] neg_lo:[0,1,0] neg_hi:[0,1,0]
	v_pk_add_f16 v6, v10, v6
	v_alignbit_b32 v10, s0, v31, 16
	v_pk_fma_f16 v26, 0xbb7b, v24, v27 op_sel:[0,0,1] op_sel_hi:[0,1,0]
	v_pk_mul_f16 v28, 0x2fb7, v33 op_sel_hi:[0,1]
	v_add_f16_e32 v96, v99, v96
	v_fmamk_f16 v99, v76, 0xb5ac, v104
	v_mul_f16_sdwa v82, v30, v82 dst_sel:DWORD dst_unused:UNUSED_PAD src0_sel:WORD_1 src1_sel:DWORD
	v_add_f16_e32 v72, v77, v72
	v_add_f16_e32 v62, v70, v62
	v_fmac_f16_e32 v90, 0xbbc4, v32
	v_add_f16_e32 v12, v78, v12
	v_fmac_f16_e32 v87, 0xb9fd, v33
	v_bfi_b32 v43, 0xffff, v56, v58
	v_bfi_b32 v39, 0xffff, v48, v47
	v_pk_add_f16 v15, v31, v15
	v_pk_add_f16 v11, v25, v11
	v_pk_fma_f16 v24, 0xbb7b, v24, v27 op_sel:[0,0,1] op_sel_hi:[0,1,0] neg_lo:[0,1,0] neg_hi:[0,1,0]
	v_pk_add_f16 v6, v10, v6
	v_alignbit_b32 v10, s0, v26, 16
	v_pk_fma_f16 v25, 0x3bf1, v30, v28 op_sel:[0,0,1] op_sel_hi:[0,1,0]
	v_add_f16_e32 v96, v99, v96
	v_fma_f16 v99, v33, 0xb5ac, -v82
	v_add_f16_e32 v81, v97, v88
	v_fma_f16 v83, v76, 0xb5ac, -v104
	v_fmac_f16_e32 v82, 0xb5ac, v33
	v_add_f16_e32 v61, v75, v72
	v_fma_f16 v16, v76, 0x388b, -v94
	v_add_f16_e32 v17, v90, v62
	v_fmac_f16_e32 v92, 0x388b, v33
	v_add_f16_e32 v12, v87, v12
	v_bfi_b32 v52, 0xffff, v59, v60
	v_pk_add_f16 v9, v43, v9
	v_mad_u32_u24 v36, v2, 48, v19
	v_pk_add_f16 v8, v39, v8
	v_pk_add_f16 v15, v26, v15
	;; [unrolled: 1-line block ×3, first 2 shown]
	v_pk_fma_f16 v24, 0x3bf1, v30, v28 op_sel:[0,0,1] op_sel_hi:[0,1,0] neg_lo:[0,1,0] neg_hi:[0,1,0]
	v_pk_add_f16 v6, v10, v6
	v_alignbit_b32 v10, s0, v25, 16
	v_add_f16_e32 v95, v102, v95
	v_add_f16_e32 v81, v83, v81
	;; [unrolled: 1-line block ×5, first 2 shown]
	v_pk_add_f16 v9, v52, v9
	v_pack_b32_f16 v12, v12, v14
	ds_write2_b32 v36, v7, v8 offset1:1
	v_pk_add_f16 v7, v25, v15
	v_pk_add_f16 v8, v24, v11
	;; [unrolled: 1-line block ×3, first 2 shown]
	v_add_f16_e32 v95, v99, v95
	ds_write2_b32 v36, v9, v12 offset0:2 offset1:3
	v_pack_b32_f16 v9, v62, v81
	v_pack_b32_f16 v10, v17, v16
	v_alignbit_b32 v7, v7, v8, 16
	v_pack_b32_f16 v6, v6, v8
	v_pack_b32_f16 v8, v85, v79
	;; [unrolled: 1-line block ×4, first 2 shown]
	v_perm_b32 v13, v21, v4, 0x5040100
	v_perm_b32 v14, v20, v5, 0x5040100
	ds_write2_b32 v36, v10, v9 offset0:4 offset1:5
	ds_write2_b32 v36, v6, v7 offset0:6 offset1:7
	;; [unrolled: 1-line block ×4, first 2 shown]
	ds_write_b32 v36, v14 offset:48
.LBB0_13:
	s_or_b32 exec_lo, exec_lo, s1
	v_and_b32_e32 v6, 0xff, v2
	v_mov_b32_e32 v7, 10
	s_waitcnt lgkmcnt(0)
	s_barrier
	buffer_gl0_inv
	v_mul_lo_u16 v6, 0x4f, v6
	v_add_nc_u32_e32 v10, 0x600, v19
	v_mov_b32_e32 v11, 2
	v_cmp_gt_u32_e64 s0, 39, v2
	v_lshrrev_b16 v8, 10, v6
	v_mul_lo_u16 v6, v8, 13
	v_sub_nc_u16 v9, v2, v6
	v_mul_u32_u24_sdwa v6, v9, v7 dst_sel:DWORD dst_unused:UNUSED_PAD src0_sel:BYTE_0 src1_sel:DWORD
	v_lshlrev_b32_sdwa v9, v11, v9 dst_sel:DWORD dst_unused:UNUSED_PAD src0_sel:DWORD src1_sel:BYTE_0
	v_lshlrev_b32_e32 v6, 2, v6
	s_clause 0x2
	global_load_dwordx4 v[13:16], v6, s[8:9]
	global_load_dwordx4 v[24:27], v6, s[8:9] offset:16
	global_load_dwordx2 v[28:29], v6, s[8:9] offset:32
	ds_read2_b32 v[30:31], v23 offset0:112 offset1:216
	ds_read2_b32 v[32:33], v22 offset0:64 offset1:168
	ds_read_b32 v17, v19 offset:4160
	ds_read2_b32 v[6:7], v19 offset1:104
	ds_read2_b32 v[34:35], v3 offset0:80 offset1:184
	ds_read2_b32 v[36:37], v10 offset0:32 offset1:136
	v_mov_b32_e32 v3, 0x23c
	s_waitcnt vmcnt(0) lgkmcnt(0)
	s_barrier
	buffer_gl0_inv
	v_mul_u32_u24_sdwa v3, v8, v3 dst_sel:DWORD dst_unused:UNUSED_PAD src0_sel:WORD_0 src1_sel:DWORD
	v_add3_u32 v9, 0, v3, v9
	v_lshrrev_b32_e32 v41, 16, v17
	v_lshrrev_b32_e32 v42, 16, v7
	;; [unrolled: 1-line block ×10, first 2 shown]
	v_mul_f16_sdwa v3, v13, v42 dst_sel:DWORD dst_unused:UNUSED_PAD src0_sel:WORD_1 src1_sel:DWORD
	v_mul_f16_sdwa v47, v13, v7 dst_sel:DWORD dst_unused:UNUSED_PAD src0_sel:WORD_1 src1_sel:DWORD
	;; [unrolled: 1-line block ×10, first 2 shown]
	v_mul_f16_sdwa v56, v8, v25 dst_sel:DWORD dst_unused:UNUSED_PAD src0_sel:DWORD src1_sel:WORD_1
	v_mul_f16_sdwa v57, v30, v25 dst_sel:DWORD dst_unused:UNUSED_PAD src0_sel:DWORD src1_sel:WORD_1
	;; [unrolled: 1-line block ×10, first 2 shown]
	v_fmac_f16_e32 v3, v13, v7
	v_fma_f16 v7, v13, v42, -v47
	v_fmac_f16_e32 v48, v14, v34
	v_fma_f16 v13, v14, v43, -v49
	;; [unrolled: 2-line block ×8, first 2 shown]
	v_fmac_f16_e32 v12, v33, v28
	v_fmac_f16_e32 v11, v17, v29
	v_fma_f16 v17, v41, v29, -v63
	v_fma_f16 v27, v40, v28, -v62
	v_add_f16_e32 v26, v3, v6
	v_add_f16_sdwa v28, v7, v6 dst_sel:DWORD dst_unused:UNUSED_PAD src0_sel:DWORD src1_sel:WORD_1
	v_add_f16_e32 v29, v3, v11
	v_add_f16_e32 v30, v7, v17
	v_sub_f16_e32 v7, v7, v17
	v_add_f16_e32 v32, v13, v27
	v_sub_f16_e32 v34, v13, v27
	v_add_f16_e32 v26, v26, v48
	v_add_f16_e32 v13, v28, v13
	v_sub_f16_e32 v3, v3, v11
	v_add_f16_e32 v31, v48, v12
	v_sub_f16_e32 v33, v48, v12
	v_mul_f16_e32 v28, 0xb853, v7
	v_mul_f16_e32 v47, 0x3abb, v30
	;; [unrolled: 1-line block ×10, first 2 shown]
	v_add_f16_e32 v26, v26, v50
	v_add_f16_e32 v13, v13, v14
	;; [unrolled: 1-line block ×3, first 2 shown]
	v_sub_f16_e32 v38, v14, v25
	v_add_f16_e32 v40, v15, v24
	v_sub_f16_e32 v41, v15, v24
	v_sub_f16_e32 v43, v16, v8
	v_add_f16_e32 v35, v50, v60
	v_sub_f16_e32 v37, v50, v60
	v_mul_f16_e32 v61, 0x36a6, v32
	v_mul_f16_e32 v63, 0xb93d, v32
	;; [unrolled: 1-line block ×5, first 2 shown]
	v_fmamk_f16 v14, v29, 0x3abb, v28
	v_fmamk_f16 v50, v3, 0x3853, v47
	v_fma_f16 v28, v29, 0x3abb, -v28
	v_fmac_f16_e32 v47, 0xb853, v3
	v_fmamk_f16 v91, v29, 0x36a6, v48
	v_fmamk_f16 v92, v3, 0x3b47, v49
	v_fma_f16 v48, v29, 0x36a6, -v48
	v_fmac_f16_e32 v49, 0xbb47, v3
	;; [unrolled: 4-line block ×5, first 2 shown]
	v_add_f16_e32 v26, v26, v52
	v_add_f16_e32 v13, v13, v15
	;; [unrolled: 1-line block ×3, first 2 shown]
	v_sub_f16_e32 v42, v52, v58
	v_add_f16_e32 v44, v54, v56
	v_add_f16_e32 v45, v16, v8
	v_mul_f16_e32 v59, 0xbb47, v34
	v_mul_f16_e32 v62, 0xba0c, v34
	;; [unrolled: 1-line block ×30, first 2 shown]
	v_fmamk_f16 v106, v33, 0xb853, v32
	v_fmac_f16_e32 v32, 0x3853, v33
	v_add_f16_e32 v14, v14, v6
	v_add_f16_sdwa v50, v50, v6 dst_sel:DWORD dst_unused:UNUSED_PAD src0_sel:DWORD src1_sel:WORD_1
	v_add_f16_e32 v28, v28, v6
	v_add_f16_sdwa v47, v47, v6 dst_sel:DWORD dst_unused:UNUSED_PAD src0_sel:DWORD src1_sel:WORD_1
	;; [unrolled: 2-line block ×10, first 2 shown]
	v_add_f16_e32 v15, v26, v54
	v_add_f16_e32 v13, v13, v16
	v_sub_f16_e32 v46, v54, v56
	v_mul_f16_e32 v88, 0xbbad, v45
	v_mul_f16_e32 v89, 0x3abb, v45
	v_mul_f16_e32 v90, 0xb93d, v45
	v_fmamk_f16 v3, v31, 0x36a6, v59
	v_fmamk_f16 v29, v33, 0x3b47, v61
	v_fma_f16 v59, v31, 0x36a6, -v59
	v_fmac_f16_e32 v61, 0xbb47, v33
	v_fmamk_f16 v99, v31, 0xb93d, v62
	v_fmamk_f16 v100, v33, 0x3a0c, v63
	v_fma_f16 v62, v31, 0xb93d, -v62
	v_fmac_f16_e32 v63, 0xba0c, v33
	;; [unrolled: 4-line block ×4, first 2 shown]
	v_fmamk_f16 v105, v31, 0x3abb, v34
	v_fma_f16 v31, v31, 0x3abb, -v34
	v_fmamk_f16 v33, v35, 0xb08e, v68
	v_fmamk_f16 v34, v37, 0x3beb, v69
	v_fma_f16 v68, v35, 0xb08e, -v68
	v_fmac_f16_e32 v69, 0xbbeb, v37
	v_fmamk_f16 v107, v35, 0xbbad, v70
	v_fmamk_f16 v108, v37, 0xb482, v71
	v_fma_f16 v70, v35, 0xbbad, -v70
	v_fmac_f16_e32 v71, 0x3482, v37
	;; [unrolled: 4-line block ×5, first 2 shown]
	v_fmamk_f16 v37, v39, 0xb93d, v76
	v_fma_f16 v38, v39, 0xb93d, -v76
	v_fmamk_f16 v76, v39, 0xb08e, v78
	v_fma_f16 v78, v39, 0xb08e, -v78
	;; [unrolled: 2-line block ×5, first 2 shown]
	v_fmamk_f16 v41, v42, 0x3a0c, v77
	v_fmac_f16_e32 v77, 0xba0c, v42
	v_fmamk_f16 v118, v42, 0xbbeb, v79
	v_fmac_f16_e32 v79, 0x3beb, v42
	;; [unrolled: 2-line block ×5, first 2 shown]
	v_fmamk_f16 v42, v44, 0xbbad, v84
	v_fma_f16 v84, v44, 0xbbad, -v84
	v_fmamk_f16 v122, v44, 0x3abb, v85
	v_fma_f16 v85, v44, 0x3abb, -v85
	;; [unrolled: 2-line block ×5, first 2 shown]
	v_mul_f16_e32 v44, 0x36a6, v45
	v_mul_f16_e32 v45, 0xb08e, v45
	v_add_f16_e32 v6, v32, v6
	v_add_f16_e32 v15, v15, v56
	;; [unrolled: 1-line block ×3, first 2 shown]
	v_fmamk_f16 v30, v46, 0x3482, v88
	v_fmac_f16_e32 v88, 0xb482, v46
	v_fmamk_f16 v126, v46, 0xb853, v89
	v_fmac_f16_e32 v89, 0x3853, v46
	;; [unrolled: 2-line block ×5, first 2 shown]
	v_add_f16_e32 v3, v3, v14
	v_add_f16_e32 v14, v29, v50
	;; [unrolled: 1-line block ×87, first 2 shown]
	v_pack_b32_f16 v14, v14, v16
	v_pack_b32_f16 v16, v28, v29
	;; [unrolled: 1-line block ×11, first 2 shown]
	ds_write2_b32 v9, v14, v16 offset0:26 offset1:39
	ds_write2_b32 v9, v27, v28 offset0:52 offset1:65
	;; [unrolled: 1-line block ×4, first 2 shown]
	ds_write_b32 v9, v30 offset:520
	ds_write2_b32 v9, v11, v13 offset1:13
	s_waitcnt lgkmcnt(0)
	s_barrier
	buffer_gl0_inv
	ds_read2_b32 v[11:12], v19 offset1:143
	ds_read2_b32 v[17:18], v18 offset0:30 offset1:173
	ds_read2_b32 v[15:16], v23 offset0:60 offset1:203
	;; [unrolled: 1-line block ×3, first 2 shown]
                                        ; implicit-def: $vgpr22
                                        ; implicit-def: $vgpr27
                                        ; implicit-def: $vgpr9
                                        ; implicit-def: $vgpr23
	s_and_saveexec_b32 s1, s0
	s_cbranch_execz .LBB0_15
; %bb.14:
	v_add_nc_u32_e32 v5, 0xa00, v19
	v_add_nc_u32_e32 v9, 0xe00, v19
	ds_read2_b32 v[7:8], v19 offset0:104 offset1:247
	ds_read2_b32 v[3:4], v10 offset0:6 offset1:149
	ds_read2_b32 v[5:6], v5 offset0:36 offset1:179
	ds_read2_b32 v[9:10], v9 offset0:66 offset1:209
	s_waitcnt lgkmcnt(3)
	v_lshrrev_b32_e32 v24, 16, v7
	s_waitcnt lgkmcnt(2)
	v_lshrrev_b32_e32 v25, 16, v3
	v_lshrrev_b32_e32 v21, 16, v4
	s_waitcnt lgkmcnt(1)
	v_lshrrev_b32_e32 v20, 16, v5
	v_lshrrev_b32_e32 v22, 16, v6
	s_waitcnt lgkmcnt(0)
	v_lshrrev_b32_e32 v27, 16, v9
	v_lshrrev_b32_e32 v23, 16, v10
	v_lshrrev_b32_e32 v26, 16, v8
.LBB0_15:
	s_or_b32 exec_lo, exec_lo, s1
	v_mul_u32_u24_e32 v28, 7, v2
	s_waitcnt lgkmcnt(0)
	v_lshrrev_b32_e32 v36, 16, v14
	v_lshrrev_b32_e32 v37, 16, v13
	;; [unrolled: 1-line block ×4, first 2 shown]
	v_lshlrev_b32_e32 v32, 2, v28
	v_lshrrev_b32_e32 v40, 16, v18
	v_lshrrev_b32_e32 v41, 16, v17
	;; [unrolled: 1-line block ×4, first 2 shown]
	s_clause 0x1
	global_load_dwordx4 v[28:31], v32, s[8:9] offset:520
	global_load_dwordx3 v[32:34], v32, s[8:9] offset:536
	v_add_nc_u32_e32 v43, 0x400, v19
	v_add_nc_u32_e32 v44, 0x800, v19
	;; [unrolled: 1-line block ×3, first 2 shown]
	s_waitcnt vmcnt(0)
	s_barrier
	buffer_gl0_inv
	v_mul_f16_sdwa v46, v28, v42 dst_sel:DWORD dst_unused:UNUSED_PAD src0_sel:WORD_1 src1_sel:DWORD
	v_mul_f16_sdwa v47, v28, v12 dst_sel:DWORD dst_unused:UNUSED_PAD src0_sel:WORD_1 src1_sel:DWORD
	;; [unrolled: 1-line block ×14, first 2 shown]
	v_fmac_f16_e32 v46, v28, v12
	v_fma_f16 v12, v28, v42, -v47
	v_fmac_f16_e32 v48, v29, v17
	v_fma_f16 v17, v29, v41, -v49
	v_fmac_f16_e32 v50, v30, v18
	v_fma_f16 v18, v30, v40, -v51
	v_fmac_f16_e32 v52, v31, v15
	v_fma_f16 v15, v31, v39, -v53
	v_fmac_f16_e32 v54, v32, v16
	v_fma_f16 v16, v32, v38, -v55
	v_fmac_f16_e32 v56, v33, v13
	v_fma_f16 v13, v33, v37, -v57
	v_fmac_f16_e32 v58, v34, v14
	v_fma_f16 v14, v34, v36, -v59
	v_sub_f16_e32 v28, v11, v52
	v_sub_f16_e32 v15, v35, v15
	;; [unrolled: 1-line block ×8, first 2 shown]
	v_fma_f16 v11, v11, 2.0, -v28
	v_fma_f16 v32, v35, 2.0, -v15
	;; [unrolled: 1-line block ×8, first 2 shown]
	v_add_f16_e32 v13, v28, v13
	v_sub_f16_e32 v29, v15, v29
	v_add_f16_e32 v14, v30, v14
	v_sub_f16_e32 v31, v16, v31
	v_sub_f16_e32 v33, v11, v33
	;; [unrolled: 1-line block ×3, first 2 shown]
	v_fma_f16 v28, v28, 2.0, -v13
	v_fma_f16 v15, v15, 2.0, -v29
	v_sub_f16_e32 v35, v34, v35
	v_sub_f16_e32 v18, v12, v18
	v_fma_f16 v30, v30, 2.0, -v14
	v_fma_f16 v16, v16, 2.0, -v31
	v_fmamk_f16 v36, v14, 0x39a8, v13
	v_fmamk_f16 v37, v31, 0x39a8, v29
	v_fma_f16 v11, v11, 2.0, -v33
	v_fma_f16 v32, v32, 2.0, -v17
	v_fma_f16 v34, v34, 2.0, -v35
	v_fma_f16 v12, v12, 2.0, -v18
	v_fmamk_f16 v38, v30, 0xb9a8, v28
	v_fmamk_f16 v39, v16, 0xb9a8, v15
	v_add_f16_e32 v18, v33, v18
	v_sub_f16_e32 v35, v17, v35
	v_fmac_f16_e32 v36, 0x39a8, v31
	v_fmac_f16_e32 v37, 0xb9a8, v14
	v_sub_f16_e32 v14, v11, v34
	v_sub_f16_e32 v12, v32, v12
	v_fmac_f16_e32 v38, 0x39a8, v16
	v_fmac_f16_e32 v39, 0xb9a8, v30
	v_fma_f16 v16, v33, 2.0, -v18
	v_fma_f16 v17, v17, 2.0, -v35
	;; [unrolled: 1-line block ×8, first 2 shown]
	v_pack_b32_f16 v16, v16, v17
	v_pack_b32_f16 v13, v13, v29
	v_pack_b32_f16 v12, v14, v12
	v_pack_b32_f16 v14, v38, v39
	v_pack_b32_f16 v11, v11, v30
	v_pack_b32_f16 v15, v28, v15
	v_pack_b32_f16 v18, v18, v35
	v_pack_b32_f16 v17, v36, v37
	ds_write2_b32 v43, v16, v13 offset0:30 offset1:173
	ds_write2_b32 v44, v12, v14 offset0:60 offset1:203
	ds_write2_b32 v19, v11, v15 offset1:143
	ds_write2_b32 v45, v18, v17 offset0:90 offset1:233
	s_and_saveexec_b32 s1, s0
	s_cbranch_execz .LBB0_17
; %bb.16:
	v_add_nc_u32_e32 v11, 0x68, v2
	v_subrev_nc_u32_e32 v12, 39, v2
	v_add_nc_u32_e32 v18, 0x600, v19
	v_add_nc_u32_e32 v28, 0xa00, v19
	v_cndmask_b32_e64 v11, v12, v11, s0
	v_mov_b32_e32 v12, 0
	v_mul_i32_i24_e32 v11, 7, v11
	v_lshlrev_b64 v[11:12], 2, v[11:12]
	v_add_co_u32 v15, s0, s8, v11
	v_add_co_ci_u32_e64 v16, s0, s9, v12, s0
	s_clause 0x1
	global_load_dwordx4 v[11:14], v[15:16], off offset:520
	global_load_dwordx3 v[15:17], v[15:16], off offset:536
	s_waitcnt vmcnt(1)
	v_mul_f16_sdwa v29, v20, v14 dst_sel:DWORD dst_unused:UNUSED_PAD src0_sel:DWORD src1_sel:WORD_1
	v_mul_f16_sdwa v30, v3, v12 dst_sel:DWORD dst_unused:UNUSED_PAD src0_sel:DWORD src1_sel:WORD_1
	s_waitcnt vmcnt(0)
	v_mul_f16_sdwa v31, v9, v16 dst_sel:DWORD dst_unused:UNUSED_PAD src0_sel:DWORD src1_sel:WORD_1
	v_mul_f16_sdwa v32, v8, v11 dst_sel:DWORD dst_unused:UNUSED_PAD src0_sel:DWORD src1_sel:WORD_1
	;; [unrolled: 1-line block ×12, first 2 shown]
	v_fmac_f16_e32 v29, v5, v14
	v_fma_f16 v5, v25, v12, -v30
	v_fma_f16 v25, v27, v16, -v31
	;; [unrolled: 1-line block ×4, first 2 shown]
	v_fmac_f16_e32 v34, v4, v13
	v_fmac_f16_e32 v35, v10, v17
	;; [unrolled: 1-line block ×4, first 2 shown]
	v_fma_f16 v4, v21, v13, -v38
	v_fma_f16 v6, v23, v17, -v39
	;; [unrolled: 1-line block ×3, first 2 shown]
	v_fmac_f16_e32 v41, v3, v12
	v_fmac_f16_e32 v42, v9, v16
	v_sub_f16_e32 v3, v7, v29
	v_sub_f16_e32 v9, v5, v25
	;; [unrolled: 1-line block ×8, first 2 shown]
	v_add_f16_e32 v15, v3, v9
	v_sub_f16_e32 v16, v10, v11
	v_add_f16_e32 v17, v12, v6
	v_fma_f16 v7, v7, 2.0, -v3
	v_sub_f16_e32 v20, v8, v13
	v_fma_f16 v13, v41, 2.0, -v13
	v_fma_f16 v21, v26, 2.0, -v10
	;; [unrolled: 1-line block ×7, first 2 shown]
	v_fmamk_f16 v22, v17, 0x39a8, v15
	v_sub_f16_e32 v13, v7, v13
	v_sub_f16_e32 v4, v21, v4
	v_sub_f16_e32 v5, v6, v5
	v_sub_f16_e32 v11, v9, v11
	v_fma_f16 v3, v3, 2.0, -v15
	v_fma_f16 v10, v10, 2.0, -v16
	;; [unrolled: 1-line block ×4, first 2 shown]
	v_fmamk_f16 v23, v16, 0x39a8, v20
	v_fmac_f16_e32 v22, 0x39a8, v16
	v_add_f16_e32 v16, v13, v4
	v_fmamk_f16 v24, v12, 0xb9a8, v3
	v_fmamk_f16 v25, v10, 0xb9a8, v8
	v_fma_f16 v7, v7, 2.0, -v13
	v_fma_f16 v9, v9, 2.0, -v11
	;; [unrolled: 1-line block ×4, first 2 shown]
	v_fmac_f16_e32 v23, 0xb9a8, v17
	v_sub_f16_e32 v17, v5, v11
	v_fmac_f16_e32 v24, 0x39a8, v10
	v_fmac_f16_e32 v25, 0xb9a8, v12
	v_sub_f16_e32 v9, v7, v9
	v_sub_f16_e32 v4, v6, v4
	v_fma_f16 v11, v15, 2.0, -v22
	v_fma_f16 v15, v20, 2.0, -v23
	v_fma_f16 v10, v13, 2.0, -v16
	v_fma_f16 v5, v5, 2.0, -v17
	v_fma_f16 v3, v3, 2.0, -v24
	v_fma_f16 v8, v8, 2.0, -v25
	v_fma_f16 v7, v7, 2.0, -v9
	v_fma_f16 v6, v6, 2.0, -v4
	v_pack_b32_f16 v5, v10, v5
	v_pack_b32_f16 v10, v11, v15
	;; [unrolled: 1-line block ×6, first 2 shown]
	v_add_nc_u32_e32 v14, 0xe00, v19
	v_pack_b32_f16 v12, v16, v17
	v_pack_b32_f16 v7, v22, v23
	ds_write2_b32 v18, v5, v10 offset0:6 offset1:149
	ds_write2_b32 v28, v4, v9 offset0:36 offset1:179
	ds_write2_b32 v19, v6, v3 offset0:104 offset1:247
	ds_write2_b32 v14, v12, v7 offset0:66 offset1:209
.LBB0_17:
	s_or_b32 exec_lo, exec_lo, s1
	s_waitcnt lgkmcnt(0)
	s_barrier
	buffer_gl0_inv
	s_and_saveexec_b32 s0, vcc_lo
	s_cbranch_execz .LBB0_19
; %bb.18:
	v_mov_b32_e32 v3, 0
	v_add_nc_u32_e32 v6, 0x200, v19
	v_add_nc_u32_e32 v10, 0x800, v19
	;; [unrolled: 1-line block ×3, first 2 shown]
	v_add_co_u32 v11, vcc_lo, s2, v0
	v_lshlrev_b64 v[2:3], 2, v[2:3]
	ds_read2_b32 v[4:5], v19 offset1:104
	ds_read2_b32 v[6:7], v6 offset0:80 offset1:184
	ds_read2_b32 v[8:9], v8 offset0:32 offset1:136
	v_add_co_ci_u32_e32 v12, vcc_lo, s3, v1, vcc_lo
	ds_read2_b32 v[0:1], v10 offset0:112 offset1:216
	v_add_nc_u32_e32 v10, 0xc00, v19
	v_add_co_u32 v2, vcc_lo, v11, v2
	ds_read2_b32 v[10:11], v10 offset0:64 offset1:168
	ds_read_b32 v14, v19 offset:4160
	v_add_co_ci_u32_e32 v3, vcc_lo, v12, v3, vcc_lo
	v_add_co_u32 v12, vcc_lo, 0x800, v2
	v_add_co_ci_u32_e32 v13, vcc_lo, 0, v3, vcc_lo
	s_waitcnt lgkmcnt(5)
	global_store_dword v[2:3], v4, off
	global_store_dword v[2:3], v5, off offset:416
	s_waitcnt lgkmcnt(4)
	global_store_dword v[2:3], v6, off offset:832
	global_store_dword v[2:3], v7, off offset:1248
	s_waitcnt lgkmcnt(3)
	global_store_dword v[2:3], v8, off offset:1664
	global_store_dword v[12:13], v9, off offset:32
	v_add_co_u32 v2, vcc_lo, 0x1000, v2
	v_add_co_ci_u32_e32 v3, vcc_lo, 0, v3, vcc_lo
	s_waitcnt lgkmcnt(2)
	global_store_dword v[12:13], v0, off offset:448
	global_store_dword v[12:13], v1, off offset:864
	s_waitcnt lgkmcnt(1)
	global_store_dword v[12:13], v10, off offset:1280
	global_store_dword v[12:13], v11, off offset:1696
	s_waitcnt lgkmcnt(0)
	global_store_dword v[2:3], v14, off offset:64
.LBB0_19:
	s_endpgm
	.section	.rodata,"a",@progbits
	.p2align	6, 0x0
	.amdhsa_kernel fft_rtc_back_len1144_factors_13_11_8_wgs_104_tpt_104_half_ip_CI_unitstride_sbrr_dirReg
		.amdhsa_group_segment_fixed_size 0
		.amdhsa_private_segment_fixed_size 0
		.amdhsa_kernarg_size 88
		.amdhsa_user_sgpr_count 6
		.amdhsa_user_sgpr_private_segment_buffer 1
		.amdhsa_user_sgpr_dispatch_ptr 0
		.amdhsa_user_sgpr_queue_ptr 0
		.amdhsa_user_sgpr_kernarg_segment_ptr 1
		.amdhsa_user_sgpr_dispatch_id 0
		.amdhsa_user_sgpr_flat_scratch_init 0
		.amdhsa_user_sgpr_private_segment_size 0
		.amdhsa_wavefront_size32 1
		.amdhsa_uses_dynamic_stack 0
		.amdhsa_system_sgpr_private_segment_wavefront_offset 0
		.amdhsa_system_sgpr_workgroup_id_x 1
		.amdhsa_system_sgpr_workgroup_id_y 0
		.amdhsa_system_sgpr_workgroup_id_z 0
		.amdhsa_system_sgpr_workgroup_info 0
		.amdhsa_system_vgpr_workitem_id 0
		.amdhsa_next_free_vgpr 130
		.amdhsa_next_free_sgpr 21
		.amdhsa_reserve_vcc 1
		.amdhsa_reserve_flat_scratch 0
		.amdhsa_float_round_mode_32 0
		.amdhsa_float_round_mode_16_64 0
		.amdhsa_float_denorm_mode_32 3
		.amdhsa_float_denorm_mode_16_64 3
		.amdhsa_dx10_clamp 1
		.amdhsa_ieee_mode 1
		.amdhsa_fp16_overflow 0
		.amdhsa_workgroup_processor_mode 1
		.amdhsa_memory_ordered 1
		.amdhsa_forward_progress 0
		.amdhsa_shared_vgpr_count 0
		.amdhsa_exception_fp_ieee_invalid_op 0
		.amdhsa_exception_fp_denorm_src 0
		.amdhsa_exception_fp_ieee_div_zero 0
		.amdhsa_exception_fp_ieee_overflow 0
		.amdhsa_exception_fp_ieee_underflow 0
		.amdhsa_exception_fp_ieee_inexact 0
		.amdhsa_exception_int_div_zero 0
	.end_amdhsa_kernel
	.text
.Lfunc_end0:
	.size	fft_rtc_back_len1144_factors_13_11_8_wgs_104_tpt_104_half_ip_CI_unitstride_sbrr_dirReg, .Lfunc_end0-fft_rtc_back_len1144_factors_13_11_8_wgs_104_tpt_104_half_ip_CI_unitstride_sbrr_dirReg
                                        ; -- End function
	.section	.AMDGPU.csdata,"",@progbits
; Kernel info:
; codeLenInByte = 9096
; NumSgprs: 23
; NumVgprs: 130
; ScratchSize: 0
; MemoryBound: 0
; FloatMode: 240
; IeeeMode: 1
; LDSByteSize: 0 bytes/workgroup (compile time only)
; SGPRBlocks: 2
; VGPRBlocks: 16
; NumSGPRsForWavesPerEU: 23
; NumVGPRsForWavesPerEU: 130
; Occupancy: 7
; WaveLimiterHint : 1
; COMPUTE_PGM_RSRC2:SCRATCH_EN: 0
; COMPUTE_PGM_RSRC2:USER_SGPR: 6
; COMPUTE_PGM_RSRC2:TRAP_HANDLER: 0
; COMPUTE_PGM_RSRC2:TGID_X_EN: 1
; COMPUTE_PGM_RSRC2:TGID_Y_EN: 0
; COMPUTE_PGM_RSRC2:TGID_Z_EN: 0
; COMPUTE_PGM_RSRC2:TIDIG_COMP_CNT: 0
	.text
	.p2alignl 6, 3214868480
	.fill 48, 4, 3214868480
	.type	__hip_cuid_ac36f05508fff35b,@object ; @__hip_cuid_ac36f05508fff35b
	.section	.bss,"aw",@nobits
	.globl	__hip_cuid_ac36f05508fff35b
__hip_cuid_ac36f05508fff35b:
	.byte	0                               ; 0x0
	.size	__hip_cuid_ac36f05508fff35b, 1

	.ident	"AMD clang version 19.0.0git (https://github.com/RadeonOpenCompute/llvm-project roc-6.4.0 25133 c7fe45cf4b819c5991fe208aaa96edf142730f1d)"
	.section	".note.GNU-stack","",@progbits
	.addrsig
	.addrsig_sym __hip_cuid_ac36f05508fff35b
	.amdgpu_metadata
---
amdhsa.kernels:
  - .args:
      - .actual_access:  read_only
        .address_space:  global
        .offset:         0
        .size:           8
        .value_kind:     global_buffer
      - .offset:         8
        .size:           8
        .value_kind:     by_value
      - .actual_access:  read_only
        .address_space:  global
        .offset:         16
        .size:           8
        .value_kind:     global_buffer
      - .actual_access:  read_only
        .address_space:  global
        .offset:         24
        .size:           8
        .value_kind:     global_buffer
      - .offset:         32
        .size:           8
        .value_kind:     by_value
      - .actual_access:  read_only
        .address_space:  global
        .offset:         40
        .size:           8
        .value_kind:     global_buffer
      - .actual_access:  read_only
        .address_space:  global
        .offset:         48
        .size:           8
        .value_kind:     global_buffer
      - .offset:         56
        .size:           4
        .value_kind:     by_value
      - .actual_access:  read_only
        .address_space:  global
        .offset:         64
        .size:           8
        .value_kind:     global_buffer
      - .actual_access:  read_only
        .address_space:  global
        .offset:         72
        .size:           8
        .value_kind:     global_buffer
      - .address_space:  global
        .offset:         80
        .size:           8
        .value_kind:     global_buffer
    .group_segment_fixed_size: 0
    .kernarg_segment_align: 8
    .kernarg_segment_size: 88
    .language:       OpenCL C
    .language_version:
      - 2
      - 0
    .max_flat_workgroup_size: 104
    .name:           fft_rtc_back_len1144_factors_13_11_8_wgs_104_tpt_104_half_ip_CI_unitstride_sbrr_dirReg
    .private_segment_fixed_size: 0
    .sgpr_count:     23
    .sgpr_spill_count: 0
    .symbol:         fft_rtc_back_len1144_factors_13_11_8_wgs_104_tpt_104_half_ip_CI_unitstride_sbrr_dirReg.kd
    .uniform_work_group_size: 1
    .uses_dynamic_stack: false
    .vgpr_count:     130
    .vgpr_spill_count: 0
    .wavefront_size: 32
    .workgroup_processor_mode: 1
amdhsa.target:   amdgcn-amd-amdhsa--gfx1030
amdhsa.version:
  - 1
  - 2
...

	.end_amdgpu_metadata
